;; amdgpu-corpus repo=ROCm/rocFFT kind=compiled arch=gfx950 opt=O3
	.text
	.amdgcn_target "amdgcn-amd-amdhsa--gfx950"
	.amdhsa_code_object_version 6
	.protected	fft_rtc_fwd_len1350_factors_5_10_3_3_3_wgs_135_tpt_135_halfLds_sp_op_CI_CI_sbrr_dirReg ; -- Begin function fft_rtc_fwd_len1350_factors_5_10_3_3_3_wgs_135_tpt_135_halfLds_sp_op_CI_CI_sbrr_dirReg
	.globl	fft_rtc_fwd_len1350_factors_5_10_3_3_3_wgs_135_tpt_135_halfLds_sp_op_CI_CI_sbrr_dirReg
	.p2align	8
	.type	fft_rtc_fwd_len1350_factors_5_10_3_3_3_wgs_135_tpt_135_halfLds_sp_op_CI_CI_sbrr_dirReg,@function
fft_rtc_fwd_len1350_factors_5_10_3_3_3_wgs_135_tpt_135_halfLds_sp_op_CI_CI_sbrr_dirReg: ; @fft_rtc_fwd_len1350_factors_5_10_3_3_3_wgs_135_tpt_135_halfLds_sp_op_CI_CI_sbrr_dirReg
; %bb.0:
	s_load_dwordx4 s[12:15], s[0:1], 0x18
	s_load_dwordx4 s[8:11], s[0:1], 0x0
	;; [unrolled: 1-line block ×3, first 2 shown]
	v_mul_u32_u24_e32 v1, 0x1e6, v0
	v_add_u32_sdwa v8, s2, v1 dst_sel:DWORD dst_unused:UNUSED_PAD src0_sel:DWORD src1_sel:WORD_1
	s_waitcnt lgkmcnt(0)
	s_load_dwordx2 s[18:19], s[12:13], 0x0
	s_load_dwordx2 s[16:17], s[14:15], 0x0
	v_mov_b32_e32 v6, 0
	v_cmp_lt_u64_e64 s[2:3], s[10:11], 2
	v_mov_b32_e32 v9, v6
	s_and_b64 vcc, exec, s[2:3]
	v_mov_b64_e32 v[14:15], 0
	s_cbranch_vccnz .LBB0_8
; %bb.1:
	s_load_dwordx2 s[2:3], s[0:1], 0x10
	s_add_u32 s20, s14, 8
	s_addc_u32 s21, s15, 0
	s_add_u32 s22, s12, 8
	s_addc_u32 s23, s13, 0
	s_waitcnt lgkmcnt(0)
	s_add_u32 s24, s2, 8
	v_mov_b64_e32 v[14:15], 0
	s_addc_u32 s25, s3, 0
	s_mov_b64 s[26:27], 1
	v_mov_b64_e32 v[2:3], v[14:15]
.LBB0_2:                                ; =>This Inner Loop Header: Depth=1
	s_load_dwordx2 s[28:29], s[24:25], 0x0
                                        ; implicit-def: $vgpr4_vgpr5
	s_waitcnt lgkmcnt(0)
	v_or_b32_e32 v7, s29, v9
	v_cmp_ne_u64_e32 vcc, 0, v[6:7]
	s_and_saveexec_b64 s[2:3], vcc
	s_xor_b64 s[30:31], exec, s[2:3]
	s_cbranch_execz .LBB0_4
; %bb.3:                                ;   in Loop: Header=BB0_2 Depth=1
	v_cvt_f32_u32_e32 v1, s28
	v_cvt_f32_u32_e32 v4, s29
	s_sub_u32 s2, 0, s28
	s_subb_u32 s3, 0, s29
	v_fmac_f32_e32 v1, 0x4f800000, v4
	v_rcp_f32_e32 v1, v1
	s_nop 0
	v_mul_f32_e32 v1, 0x5f7ffffc, v1
	v_mul_f32_e32 v4, 0x2f800000, v1
	v_trunc_f32_e32 v4, v4
	v_fmac_f32_e32 v1, 0xcf800000, v4
	v_cvt_u32_f32_e32 v7, v4
	v_cvt_u32_f32_e32 v1, v1
	v_mul_lo_u32 v4, s2, v7
	v_mul_hi_u32 v10, s2, v1
	v_mul_lo_u32 v5, s3, v1
	v_add_u32_e32 v10, v10, v4
	v_mul_lo_u32 v12, s2, v1
	v_add_u32_e32 v13, v10, v5
	v_mul_hi_u32 v4, v1, v12
	v_mul_hi_u32 v11, v1, v13
	v_mul_lo_u32 v10, v1, v13
	v_mov_b32_e32 v5, v6
	v_lshl_add_u64 v[4:5], v[4:5], 0, v[10:11]
	v_mul_hi_u32 v11, v7, v12
	v_mul_lo_u32 v12, v7, v12
	v_add_co_u32_e32 v4, vcc, v4, v12
	v_mul_hi_u32 v10, v7, v13
	s_nop 0
	v_addc_co_u32_e32 v4, vcc, v5, v11, vcc
	v_mov_b32_e32 v5, v6
	s_nop 0
	v_addc_co_u32_e32 v11, vcc, 0, v10, vcc
	v_mul_lo_u32 v10, v7, v13
	v_lshl_add_u64 v[4:5], v[4:5], 0, v[10:11]
	v_add_co_u32_e32 v1, vcc, v1, v4
	v_mul_lo_u32 v10, s2, v1
	s_nop 0
	v_addc_co_u32_e32 v7, vcc, v7, v5, vcc
	v_mul_lo_u32 v4, s2, v7
	v_mul_hi_u32 v5, s2, v1
	v_add_u32_e32 v4, v5, v4
	v_mul_lo_u32 v5, s3, v1
	v_add_u32_e32 v12, v4, v5
	v_mul_hi_u32 v16, v7, v10
	v_mul_lo_u32 v17, v7, v10
	v_mul_hi_u32 v5, v1, v12
	v_mul_lo_u32 v4, v1, v12
	v_mul_hi_u32 v10, v1, v10
	v_mov_b32_e32 v11, v6
	v_lshl_add_u64 v[4:5], v[10:11], 0, v[4:5]
	v_add_co_u32_e32 v4, vcc, v4, v17
	v_mul_hi_u32 v13, v7, v12
	s_nop 0
	v_addc_co_u32_e32 v4, vcc, v5, v16, vcc
	v_mul_lo_u32 v10, v7, v12
	s_nop 0
	v_addc_co_u32_e32 v11, vcc, 0, v13, vcc
	v_mov_b32_e32 v5, v6
	v_lshl_add_u64 v[4:5], v[4:5], 0, v[10:11]
	v_add_co_u32_e32 v1, vcc, v1, v4
	v_mul_hi_u32 v10, v8, v1
	s_nop 0
	v_addc_co_u32_e32 v7, vcc, v7, v5, vcc
	v_mad_u64_u32 v[4:5], s[2:3], v8, v7, 0
	v_mov_b32_e32 v11, v6
	v_lshl_add_u64 v[4:5], v[10:11], 0, v[4:5]
	v_mad_u64_u32 v[12:13], s[2:3], v9, v1, 0
	v_add_co_u32_e32 v1, vcc, v4, v12
	v_mad_u64_u32 v[10:11], s[2:3], v9, v7, 0
	s_nop 0
	v_addc_co_u32_e32 v4, vcc, v5, v13, vcc
	v_mov_b32_e32 v5, v6
	s_nop 0
	v_addc_co_u32_e32 v11, vcc, 0, v11, vcc
	v_lshl_add_u64 v[4:5], v[4:5], 0, v[10:11]
	v_mul_lo_u32 v1, s29, v4
	v_mul_lo_u32 v7, s28, v5
	v_mad_u64_u32 v[10:11], s[2:3], s28, v4, 0
	v_add3_u32 v1, v11, v7, v1
	v_sub_u32_e32 v7, v9, v1
	v_mov_b32_e32 v11, s29
	v_sub_co_u32_e32 v16, vcc, v8, v10
	v_lshl_add_u64 v[12:13], v[4:5], 0, 1
	s_nop 0
	v_subb_co_u32_e64 v7, s[2:3], v7, v11, vcc
	v_subrev_co_u32_e64 v10, s[2:3], s28, v16
	v_subb_co_u32_e32 v1, vcc, v9, v1, vcc
	s_nop 0
	v_subbrev_co_u32_e64 v7, s[2:3], 0, v7, s[2:3]
	v_cmp_le_u32_e64 s[2:3], s29, v7
	v_cmp_le_u32_e32 vcc, s29, v1
	s_nop 0
	v_cndmask_b32_e64 v11, 0, -1, s[2:3]
	v_cmp_le_u32_e64 s[2:3], s28, v10
	s_nop 1
	v_cndmask_b32_e64 v10, 0, -1, s[2:3]
	v_cmp_eq_u32_e64 s[2:3], s29, v7
	s_nop 1
	v_cndmask_b32_e64 v7, v11, v10, s[2:3]
	v_lshl_add_u64 v[10:11], v[4:5], 0, 2
	v_cmp_ne_u32_e64 s[2:3], 0, v7
	s_nop 1
	v_cndmask_b32_e64 v7, v13, v11, s[2:3]
	v_cndmask_b32_e64 v11, 0, -1, vcc
	v_cmp_le_u32_e32 vcc, s28, v16
	s_nop 1
	v_cndmask_b32_e64 v13, 0, -1, vcc
	v_cmp_eq_u32_e32 vcc, s29, v1
	s_nop 1
	v_cndmask_b32_e32 v1, v11, v13, vcc
	v_cmp_ne_u32_e32 vcc, 0, v1
	v_cndmask_b32_e64 v1, v12, v10, s[2:3]
	s_nop 0
	v_cndmask_b32_e32 v5, v5, v7, vcc
	v_cndmask_b32_e32 v4, v4, v1, vcc
.LBB0_4:                                ;   in Loop: Header=BB0_2 Depth=1
	s_andn2_saveexec_b64 s[2:3], s[30:31]
	s_cbranch_execz .LBB0_6
; %bb.5:                                ;   in Loop: Header=BB0_2 Depth=1
	v_cvt_f32_u32_e32 v1, s28
	s_sub_i32 s30, 0, s28
	v_rcp_iflag_f32_e32 v1, v1
	s_nop 0
	v_mul_f32_e32 v1, 0x4f7ffffe, v1
	v_cvt_u32_f32_e32 v1, v1
	v_mul_lo_u32 v4, s30, v1
	v_mul_hi_u32 v4, v1, v4
	v_add_u32_e32 v1, v1, v4
	v_mul_hi_u32 v1, v8, v1
	v_mul_lo_u32 v4, v1, s28
	v_sub_u32_e32 v4, v8, v4
	v_add_u32_e32 v5, 1, v1
	v_subrev_u32_e32 v7, s28, v4
	v_cmp_le_u32_e32 vcc, s28, v4
	s_nop 1
	v_cndmask_b32_e32 v4, v4, v7, vcc
	v_cndmask_b32_e32 v1, v1, v5, vcc
	v_add_u32_e32 v5, 1, v1
	v_cmp_le_u32_e32 vcc, s28, v4
	s_nop 1
	v_cndmask_b32_e32 v4, v1, v5, vcc
	v_mov_b32_e32 v5, v6
.LBB0_6:                                ;   in Loop: Header=BB0_2 Depth=1
	s_or_b64 exec, exec, s[2:3]
	v_mad_u64_u32 v[10:11], s[2:3], v4, s28, 0
	s_load_dwordx2 s[2:3], s[22:23], 0x0
	v_mul_lo_u32 v1, v5, s28
	v_mul_lo_u32 v7, v4, s29
	s_load_dwordx2 s[28:29], s[20:21], 0x0
	s_add_u32 s26, s26, 1
	v_add3_u32 v1, v11, v7, v1
	v_sub_co_u32_e32 v7, vcc, v8, v10
	s_addc_u32 s27, s27, 0
	s_nop 0
	v_subb_co_u32_e32 v1, vcc, v9, v1, vcc
	s_add_u32 s20, s20, 8
	s_waitcnt lgkmcnt(0)
	v_mul_lo_u32 v8, s2, v1
	v_mul_lo_u32 v9, s3, v7
	v_mad_u64_u32 v[14:15], s[2:3], s2, v7, v[14:15]
	s_addc_u32 s21, s21, 0
	v_add3_u32 v15, v9, v15, v8
	v_mul_lo_u32 v1, s28, v1
	v_mul_lo_u32 v8, s29, v7
	v_mad_u64_u32 v[2:3], s[2:3], s28, v7, v[2:3]
	s_add_u32 s22, s22, 8
	v_add3_u32 v3, v8, v3, v1
	s_addc_u32 s23, s23, 0
	v_mov_b64_e32 v[8:9], s[10:11]
	s_add_u32 s24, s24, 8
	v_cmp_ge_u64_e32 vcc, s[26:27], v[8:9]
	s_addc_u32 s25, s25, 0
	s_cbranch_vccnz .LBB0_9
; %bb.7:                                ;   in Loop: Header=BB0_2 Depth=1
	v_mov_b64_e32 v[8:9], v[4:5]
	s_branch .LBB0_2
.LBB0_8:
	v_mov_b64_e32 v[2:3], v[14:15]
	v_mov_b64_e32 v[4:5], v[8:9]
.LBB0_9:
	s_load_dwordx2 s[0:1], s[0:1], 0x28
	s_lshl_b64 s[10:11], s[10:11], 3
	s_add_u32 s2, s14, s10
	s_addc_u32 s3, s15, s11
                                        ; implicit-def: $vgpr32
                                        ; implicit-def: $vgpr34
                                        ; implicit-def: $vgpr35
                                        ; implicit-def: $vgpr33
	s_waitcnt lgkmcnt(0)
	v_cmp_gt_u64_e32 vcc, s[0:1], v[4:5]
	v_cmp_le_u64_e64 s[0:1], s[0:1], v[4:5]
	s_and_saveexec_b64 s[14:15], s[0:1]
	s_xor_b64 s[0:1], exec, s[14:15]
; %bb.10:
	s_mov_b32 s14, 0x1e573ad
	v_mul_hi_u32 v1, v0, s14
	v_mul_u32_u24_e32 v1, 0x87, v1
	v_sub_u32_e32 v32, v0, v1
	v_add_u32_e32 v34, 0x87, v32
	v_add_u32_e32 v35, 0x10e, v32
	;; [unrolled: 1-line block ×3, first 2 shown]
                                        ; implicit-def: $vgpr0
                                        ; implicit-def: $vgpr14_vgpr15
; %bb.11:
	s_or_saveexec_b64 s[0:1], s[0:1]
                                        ; implicit-def: $vgpr22
                                        ; implicit-def: $vgpr20
                                        ; implicit-def: $vgpr26
                                        ; implicit-def: $vgpr30
                                        ; implicit-def: $vgpr10
                                        ; implicit-def: $vgpr12
                                        ; implicit-def: $vgpr16
                                        ; implicit-def: $vgpr18
                                        ; implicit-def: $vgpr8
                                        ; implicit-def: $vgpr6
                                        ; implicit-def: $vgpr28
                                        ; implicit-def: $vgpr24
	s_xor_b64 exec, exec, s[0:1]
	s_cbranch_execz .LBB0_13
; %bb.12:
	s_add_u32 s10, s12, s10
	s_addc_u32 s11, s13, s11
	s_load_dwordx2 s[10:11], s[10:11], 0x0
	s_mov_b32 s12, 0x1e573ad
	s_waitcnt lgkmcnt(0)
	v_mul_lo_u32 v1, s11, v4
	v_mul_lo_u32 v8, s10, v5
	v_mad_u64_u32 v[6:7], s[10:11], s10, v4, 0
	v_add3_u32 v7, v7, v8, v1
	v_mul_hi_u32 v1, v0, s12
	v_mul_u32_u24_e32 v1, 0x87, v1
	v_sub_u32_e32 v32, v0, v1
	v_mad_u64_u32 v[0:1], s[10:11], s18, v32, 0
	v_mov_b32_e32 v8, v1
	v_mad_u64_u32 v[8:9], s[10:11], s19, v32, v[8:9]
	v_lshl_add_u64 v[6:7], v[6:7], 3, s[4:5]
	v_add_u32_e32 v35, 0x10e, v32
	v_mov_b32_e32 v1, v8
	v_lshl_add_u64 v[8:9], v[14:15], 3, v[6:7]
	v_mad_u64_u32 v[6:7], s[4:5], s18, v35, 0
	v_mov_b32_e32 v10, v7
	v_mad_u64_u32 v[10:11], s[4:5], s19, v35, v[10:11]
	v_mov_b32_e32 v7, v10
	v_add_u32_e32 v13, 0x21c, v32
	v_lshl_add_u64 v[10:11], v[6:7], 3, v[8:9]
	v_mad_u64_u32 v[6:7], s[4:5], s18, v13, 0
	v_mov_b32_e32 v12, v7
	v_mad_u64_u32 v[12:13], s[4:5], s19, v13, v[12:13]
	v_mov_b32_e32 v7, v12
	v_add_u32_e32 v15, 0x32a, v32
	v_lshl_add_u64 v[12:13], v[6:7], 3, v[8:9]
	v_mad_u64_u32 v[6:7], s[4:5], s18, v15, 0
	v_mov_b32_e32 v14, v7
	v_mad_u64_u32 v[14:15], s[4:5], s19, v15, v[14:15]
	v_lshl_add_u64 v[0:1], v[0:1], 3, v[8:9]
	v_mov_b32_e32 v7, v14
	v_lshl_add_u64 v[14:15], v[6:7], 3, v[8:9]
	global_load_dwordx2 v[30:31], v[0:1], off
	global_load_dwordx2 v[36:37], v[10:11], off
	;; [unrolled: 1-line block ×4, first 2 shown]
	v_add_u32_e32 v11, 0x438, v32
	v_mad_u64_u32 v[0:1], s[4:5], s18, v11, 0
	v_mov_b32_e32 v10, v1
	v_mad_u64_u32 v[10:11], s[4:5], s19, v11, v[10:11]
	v_add_u32_e32 v34, 0x87, v32
	v_mov_b32_e32 v1, v10
	v_mad_u64_u32 v[10:11], s[4:5], s18, v34, 0
	v_mov_b32_e32 v12, v11
	v_mad_u64_u32 v[12:13], s[4:5], s19, v34, v[12:13]
	v_add_u32_e32 v33, 0x195, v32
	v_mov_b32_e32 v11, v12
	v_mad_u64_u32 v[12:13], s[4:5], s18, v33, 0
	v_mov_b32_e32 v14, v13
	v_mad_u64_u32 v[14:15], s[4:5], s19, v33, v[14:15]
	v_lshl_add_u64 v[0:1], v[0:1], 3, v[8:9]
	v_lshl_add_u64 v[10:11], v[10:11], 3, v[8:9]
	v_mov_b32_e32 v13, v14
	v_lshl_add_u64 v[12:13], v[12:13], 3, v[8:9]
	global_load_dwordx2 v[28:29], v[0:1], off
	global_load_dwordx2 v[20:21], v[10:11], off
	;; [unrolled: 1-line block ×3, first 2 shown]
	v_add_u32_e32 v11, 0x3b1, v32
	v_mad_u64_u32 v[0:1], s[4:5], s18, v11, 0
	v_mov_b32_e32 v10, v1
	v_mad_u64_u32 v[10:11], s[4:5], s19, v11, v[10:11]
	v_add_u32_e32 v13, 0x4bf, v32
	v_mov_b32_e32 v1, v10
	v_mad_u64_u32 v[10:11], s[4:5], s18, v13, 0
	v_mov_b32_e32 v12, v11
	v_mad_u64_u32 v[12:13], s[4:5], s19, v13, v[12:13]
	v_mov_b32_e32 v11, v12
	v_lshl_add_u64 v[0:1], v[0:1], 3, v[8:9]
	v_lshl_add_u64 v[10:11], v[10:11], 3, v[8:9]
	global_load_dwordx2 v[22:23], v[0:1], off
	global_load_dwordx2 v[24:25], v[10:11], off
	v_add_u32_e32 v11, 0x2a3, v32
	v_mad_u64_u32 v[0:1], s[4:5], s18, v11, 0
	v_mov_b32_e32 v10, v1
	v_mad_u64_u32 v[10:11], s[4:5], s19, v11, v[10:11]
	v_mov_b32_e32 v1, v10
	v_lshl_add_u64 v[0:1], v[0:1], 3, v[8:9]
	global_load_dwordx2 v[8:9], v[0:1], off
	s_waitcnt vmcnt(9)
	v_mov_b32_e32 v18, v31
	s_waitcnt vmcnt(8)
	v_mov_b32_e32 v16, v37
	;; [unrolled: 2-line block ×6, first 2 shown]
	v_mov_b32_e32 v29, v36
	s_waitcnt vmcnt(2)
	v_mov_b32_e32 v13, v23
	s_waitcnt vmcnt(1)
	v_mov_b32_e32 v11, v25
	v_mov_b32_e32 v25, v14
.LBB0_13:
	s_or_b64 exec, exec, s[0:1]
	v_add_f32_e32 v0, v26, v6
	v_mov_b32_e32 v27, v6
	v_mul_f32_e32 v37, 0.5, v0
	v_pk_add_f32 v[0:1], v[28:29], v[26:27] neg_lo:[0,1] neg_hi:[0,1]
	s_mov_b32 s0, 0x3f737871
	v_add_f32_e32 v58, v0, v1
	v_add_f32_e32 v0, v28, v29
	v_mul_f32_e32 v39, 0.5, v0
	v_pk_add_f32 v[0:1], v[16:17], v[18:19]
	s_mov_b32 s1, 0x3f167918
	v_add_f32_e32 v1, v19, v7
	v_mov_b32_e32 v14, v29
	v_mov_b32_e32 v15, v6
	;; [unrolled: 1-line block ×4, first 2 shown]
	v_fma_f32 v23, -0.5, v1, v18
	v_pk_add_f32 v[42:43], v[14:15], v[42:43] neg_lo:[0,1] neg_hi:[0,1]
	v_add_f32_e32 v1, v17, v16
	s_mov_b32 s4, s1
	s_mov_b32 s5, s0
	v_pk_add_f32 v[40:41], v[16:17], v[18:19] neg_lo:[0,1] neg_hi:[0,1]
	v_fmac_f32_e32 v18, -0.5, v1
	v_pk_mul_f32 v[44:45], v[42:43], s[4:5]
	v_mov_b32_e32 v48, v25
	v_add_f32_e32 v1, v45, v18
	v_sub_f32_e32 v14, v1, v44
	v_sub_f32_e32 v1, v18, v45
	v_add_f32_e32 v15, v44, v1
	s_waitcnt vmcnt(0)
	v_add_f32_e32 v1, v13, v9
	v_mov_b32_e32 v49, v8
	v_mov_b32_e32 v50, v24
	;; [unrolled: 1-line block ×3, first 2 shown]
	v_fma_f32 v18, -0.5, v1, v12
	v_pk_add_f32 v[48:49], v[48:49], v[50:51] neg_lo:[0,1] neg_hi:[0,1]
	v_add_f32_e32 v1, v11, v10
	v_pk_add_f32 v[44:45], v[10:11], v[12:13]
	v_pk_add_f32 v[46:47], v[10:11], v[12:13] neg_lo:[0,1] neg_hi:[0,1]
	v_fmac_f32_e32 v12, -0.5, v1
	v_pk_mul_f32 v[50:51], v[48:49], s[4:5]
	v_mov_b32_e32 v38, v29
	v_add_f32_e32 v1, v51, v12
	v_sub_f32_e32 v52, v1, v50
	v_sub_f32_e32 v1, v12, v51
	v_pk_add_f32 v[54:55], v[26:27], v[28:29] neg_lo:[0,1] neg_hi:[0,1]
	v_add_f32_e32 v53, v50, v1
	v_add_f32_e32 v1, v54, v55
	v_mov_b32_e32 v45, v47
	v_mov_b32_e32 v36, v29
	v_pk_add_f32 v[46:47], v[30:31], v[38:39] op_sel_hi:[1,0]
	v_mov_b32_e32 v54, v16
	v_mov_b32_e32 v55, v30
	v_mov_b32_e32 v38, v17
	s_load_dwordx2 s[10:11], s[2:3], 0x0
	v_sub_f32_e32 v56, v7, v19
	s_mov_b32 s3, 0x3e9e377a
	v_pk_add_f32 v[36:37], v[30:31], v[36:37] op_sel_hi:[0,1] neg_lo:[0,1] neg_hi:[0,1]
	v_pk_add_f32 v[30:31], v[54:55], v[38:39] neg_lo:[0,1] neg_hi:[0,1]
	s_mov_b32 s2, s1
	v_mul_f32_e32 v51, 0x3f737871, v56
	v_mov_b32_e32 v50, 0x3f167918
	v_pk_mul_f32 v[54:55], v[30:31], s[2:3]
	v_fmamk_f32 v38, v56, 0xbf737871, v31
	v_mov_b32_e32 v39, v54
	v_pk_add_f32 v[54:55], v[30:31], v[50:51]
	v_mul_f32_e32 v12, 0x3e9e377a, v1
	v_pk_add_f32 v[54:55], v[54:55], v[38:39] neg_lo:[0,1] neg_hi:[0,1]
	v_pk_fma_f32 v[38:39], v[30:31], v[50:51], v[38:39]
	v_mov_b32_e32 v1, v41
	v_pk_mul_f32 v[40:41], v[42:43], s[0:1]
	v_mov_b32_e32 v39, v55
	v_mov_b32_e32 v54, v7
	;; [unrolled: 1-line block ×3, first 2 shown]
	v_sub_f32_e32 v27, v23, v40
	v_add_f32_e32 v23, v40, v23
	v_pk_add_f32 v[54:55], v[54:55], v[16:17] neg_lo:[0,1] neg_hi:[0,1]
	v_mul_f32_e32 v57, 0x3f167918, v56
	v_add_f32_e32 v60, v41, v23
	v_mov_b32_e32 v23, v16
	v_add_f32_e32 v16, v55, v54
	v_mov_b32_e32 v47, v37
	v_mul_f32_e32 v55, 0x3f737871, v30
	v_mov_b32_e32 v54, v6
	v_mul_f32_e32 v59, 0x3e9e377a, v58
	v_sub_f32_e32 v43, v27, v41
	v_pk_add_f32 v[46:47], v[54:55], v[46:47]
	v_mov_b32_e32 v27, v57
	v_pk_add_f32 v[26:27], v[26:27], v[46:47]
	v_mov_b32_e32 v29, v59
	v_pk_add_f32 v[40:41], v[22:23], v[6:7] neg_lo:[0,1] neg_hi:[0,1]
	v_mov_b32_e32 v23, v8
	v_pk_add_f32 v[26:27], v[28:29], v[26:27]
	v_mad_u32_u24 v54, v32, 20, 0
	v_pk_add_f32 v[46:47], v[24:25], v[22:23] neg_lo:[0,1] neg_hi:[0,1]
	v_fmac_f32_e32 v37, 0xbf737871, v30
	ds_write2_b32 v54, v26, v27 offset1:1
	v_pk_add_f32 v[26:27], v[22:23], v[24:25] neg_lo:[0,1] neg_hi:[0,1]
	v_pk_add_f32 v[38:39], v[12:13], v[38:39] op_sel_hi:[0,1]
	v_add_f32_e32 v6, v22, v8
	v_sub_f32_e32 v40, v9, v13
	v_add_f32_e32 v42, v46, v47
	v_add_f32_e32 v12, v24, v25
	;; [unrolled: 1-line block ×3, first 2 shown]
	v_fmac_f32_e32 v37, 0xbf167918, v56
	v_mul_f32_e32 v31, 0.5, v6
	v_mul_f32_e32 v36, 0x3f167918, v40
	v_mul_f32_e32 v46, 0x3e9e377a, v42
	v_mov_b32_e32 v6, v25
	v_mul_f32_e32 v47, 0.5, v12
	v_fmac_f32_e32 v37, 0x3e9e377a, v58
	v_mul_f32_e32 v12, 0x3e9e377a, v23
	v_mov_b32_e32 v23, v10
	v_mov_b32_e32 v30, v25
	ds_write2_b32 v54, v38, v39 offset0:2 offset1:3
	v_pk_add_f32 v[38:39], v[22:23], v[8:9] neg_lo:[0,1] neg_hi:[0,1]
	ds_write_b32 v54, v37 offset:16
	v_mov_b32_e32 v23, v36
	v_pk_add_f32 v[36:37], v[20:21], v[6:7] op_sel_hi:[1,0]
	v_pk_add_f32 v[30:31], v[20:21], v[30:31] op_sel_hi:[0,1] neg_lo:[0,1] neg_hi:[0,1]
	v_mov_b32_e32 v25, v46
	v_mov_b32_e32 v21, v20
	;; [unrolled: 1-line block ×4, first 2 shown]
	v_pk_add_f32 v[20:21], v[20:21], v[46:47] neg_lo:[0,1] neg_hi:[0,1]
	v_pk_mul_f32 v[26:27], v[48:49], s[0:1]
	v_mul_f32_e32 v51, 0x3f737871, v40
	v_pk_mul_f32 v[48:49], v[20:21], s[2:3]
	v_mov_b32_e32 v37, v31
	v_fmamk_f32 v46, v40, 0xbf737871, v21
	v_mov_b32_e32 v47, v48
	v_pk_add_f32 v[48:49], v[20:21], v[50:51]
	v_fmac_f32_e32 v31, 0xbf737871, v20
	v_sub_f32_e32 v28, v18, v26
	v_add_f32_e32 v18, v26, v18
	v_pk_fma_f32 v[50:51], v[20:21], v[50:51], v[46:47]
	v_pk_add_f32 v[46:47], v[48:49], v[46:47] neg_lo:[0,1] neg_hi:[0,1]
	v_mul_f32_e32 v49, 0x3f737871, v20
	v_mov_b32_e32 v48, v8
	v_fmac_f32_e32 v31, 0xbf167918, v40
	v_mov_b32_e32 v40, v7
	v_add_f32_e32 v55, v27, v18
	v_sub_f32_e32 v29, v28, v27
	v_mov_b32_e32 v26, v9
	v_mov_b32_e32 v27, v13
	v_pk_add_f32 v[36:37], v[48:49], v[36:37]
	v_pk_add_f32 v[0:1], v[40:41], v[0:1]
	v_mov_b32_e32 v7, 0x3e9e377a
	v_mov_b32_e32 v6, v19
	v_pk_add_f32 v[26:27], v[26:27], v[10:11] neg_lo:[0,1] neg_hi:[0,1]
	v_pk_add_f32 v[22:23], v[22:23], v[36:37]
	v_lshlrev_b32_e32 v56, 4, v32
	v_pk_add_f32 v[20:21], v[6:7], v[0:1]
	v_pk_mul_f32 v[0:1], v[0:1], s[2:3]
	v_mul_f32_e32 v16, 0x3e9e377a, v16
	v_add_f32_e32 v18, v27, v26
	v_mad_i32_i24 v26, v34, 20, 0
	v_mov_b32_e32 v51, v47
	v_pk_add_f32 v[22:23], v[24:25], v[22:23]
	v_fmac_f32_e32 v31, 0x3e9e377a, v42
	v_sub_u32_e32 v57, v54, v56
	v_lshlrev_b32_e32 v58, 4, v34
	v_mov_b32_e32 v21, v1
	v_mov_b32_e32 v42, v17
	v_pk_add_f32 v[46:47], v[12:13], v[50:51] op_sel_hi:[0,1]
	ds_write2_b32 v26, v22, v23 offset1:1
	ds_write2_b32 v26, v46, v47 offset0:2 offset1:3
	ds_write_b32 v26, v31 offset:16
	v_sub_u32_e32 v59, v26, v58
	v_add_u32_e32 v27, 0x800, v57
	v_add_u32_e32 v31, 0xc00, v57
	;; [unrolled: 1-line block ×3, first 2 shown]
	v_pk_add_f32 v[20:21], v[42:43], v[20:21]
	v_add_f32_e32 v6, v1, v60
	v_pk_add_f32 v[0:1], v[16:17], v[14:15] op_sel_hi:[0,1]
	v_mov_b32_e32 v38, v9
	s_waitcnt lgkmcnt(0)
	s_barrier
	v_lshl_add_u32 v37, v35, 2, 0
	v_lshl_add_u32 v36, v33, 2, 0
	ds_read_b32 v24, v59
	ds_read_b32 v30, v36
	;; [unrolled: 1-line block ×4, first 2 shown]
	ds_read2_b32 v[46:47], v27 offset0:28 offset1:163
	ds_read2_b32 v[48:49], v31 offset0:42 offset1:177
	;; [unrolled: 1-line block ×3, first 2 shown]
	s_waitcnt lgkmcnt(0)
	s_barrier
	ds_write2_b32 v54, v20, v21 offset1:1
	ds_write2_b32 v54, v0, v1 offset0:2 offset1:3
	ds_write_b32 v54, v6 offset:16
	v_pk_add_f32 v[0:1], v[38:39], v[44:45]
	v_mov_b32_e32 v6, v13
	v_pk_add_f32 v[6:7], v[6:7], v[0:1]
	v_pk_mul_f32 v[0:1], v[0:1], s[2:3]
	v_mul_f32_e32 v18, 0x3e9e377a, v18
	v_mov_b32_e32 v7, v1
	v_mov_b32_e32 v28, v11
	v_pk_add_f32 v[6:7], v[28:29], v[6:7]
	v_add_f32_e32 v8, v1, v55
	v_pk_add_f32 v[0:1], v[18:19], v[52:53] op_sel_hi:[0,1]
	s_movk_i32 s4, 0xcd
	ds_write2_b32 v26, v6, v7 offset1:1
	ds_write2_b32 v26, v0, v1 offset0:2 offset1:3
	ds_write_b32 v26, v8 offset:16
	v_mul_lo_u16_sdwa v0, v32, s4 dst_sel:DWORD dst_unused:UNUSED_PAD src0_sel:BYTE_0 src1_sel:DWORD
	v_lshrrev_b16_e32 v55, 10, v0
	v_mul_lo_u16_e32 v0, 5, v55
	v_sub_u16_e32 v60, v32, v0
	v_mov_b32_e32 v0, 9
	v_mul_u32_u24_sdwa v0, v60, v0 dst_sel:DWORD dst_unused:UNUSED_PAD src0_sel:BYTE_0 src1_sel:DWORD
	v_lshlrev_b32_e32 v63, 3, v0
	s_waitcnt lgkmcnt(0)
	s_barrier
	global_load_dwordx4 v[8:11], v63, s[8:9]
	global_load_dwordx4 v[12:15], v63, s[8:9] offset:16
	global_load_dwordx4 v[20:23], v63, s[8:9] offset:32
	;; [unrolled: 1-line block ×3, first 2 shown]
	ds_read_b32 v18, v59
	ds_read_b32 v1, v37
	;; [unrolled: 1-line block ×3, first 2 shown]
	ds_read2_b32 v[28:29], v27 offset0:28 offset1:163
	ds_read2_b32 v[44:45], v31 offset0:42 offset1:177
	;; [unrolled: 1-line block ×3, first 2 shown]
	s_mov_b32 s4, s3
	s_mov_b32 s5, s1
	;; [unrolled: 1-line block ×4, first 2 shown]
	s_waitcnt vmcnt(3) lgkmcnt(4)
	v_mul_f32_e32 v0, v1, v11
	v_mul_f32_e32 v27, v25, v11
	v_fma_f32 v0, v25, v10, -v0
	v_fmac_f32_e32 v27, v1, v10
	s_waitcnt vmcnt(2) lgkmcnt(2)
	v_mul_f32_e32 v1, v28, v15
	v_pk_mul_f32 v[10:11], v[24:25], v[8:9] op_sel_hi:[0,1]
	v_fma_f32 v6, v46, v14, -v1
	v_mul_f32_e32 v1, v28, v14
	v_mul_f32_e32 v7, v46, v15
	v_pk_fma_f32 v[16:17], v[18:19], v[8:9], v[10:11] op_sel:[0,0,1] op_sel_hi:[0,1,0]
	v_pk_fma_f32 v[14:15], v[18:19], v[8:9], v[10:11] op_sel:[0,0,1] op_sel_hi:[0,1,0] neg_lo:[1,0,0] neg_hi:[1,0,0]
	s_waitcnt vmcnt(1) lgkmcnt(1)
	v_mul_f32_e32 v8, v44, v23
	v_fma_f32 v28, v48, v22, -v8
	s_waitcnt vmcnt(0) lgkmcnt(0)
	v_mul_f32_e32 v8, v52, v43
	v_fma_f32 v39, v50, v42, -v8
	v_pk_mul_f32 v[8:9], v[30:31], v[12:13] op_sel_hi:[0,1]
	v_pk_fma_f32 v[10:11], v[38:39], v[12:13], v[8:9] op_sel:[0,0,1] op_sel_hi:[1,1,0]
	v_pk_fma_f32 v[8:9], v[38:39], v[12:13], v[8:9] op_sel:[0,0,1] op_sel_hi:[0,1,0] neg_lo:[1,0,0] neg_hi:[1,0,0]
	v_add_f32_e32 v8, v6, v28
	v_mov_b32_e32 v12, v47
	v_mul_f32_e32 v19, v48, v23
	v_fma_f32 v11, -0.5, v8, v61
	v_mov_b32_e32 v8, v29
	v_pk_mul_f32 v[12:13], v[12:13], v[20:21] op_sel_hi:[0,1]
	v_fmac_f32_e32 v19, v44, v22
	v_mul_f32_e32 v14, v50, v43
	v_sub_f32_e32 v18, v39, v28
	v_pk_fma_f32 v[24:25], v[8:9], v[20:21], v[12:13] op_sel:[0,0,1] op_sel_hi:[1,1,0]
	v_pk_fma_f32 v[12:13], v[8:9], v[20:21], v[12:13] op_sel:[0,0,1] op_sel_hi:[0,1,0] neg_lo:[1,0,0] neg_hi:[1,0,0]
	v_pk_add_f32 v[22:23], v[0:1], v[6:7] neg_lo:[0,1] neg_hi:[0,1]
	v_pk_add_f32 v[20:21], v[0:1], v[6:7]
	v_fmac_f32_e32 v14, v52, v42
	v_pk_add_f32 v[22:23], v[22:23], v[18:19]
	v_pk_add_f32 v[30:31], v[20:21], v[18:19] neg_lo:[0,1] neg_hi:[0,1]
	v_sub_f32_e32 v17, v27, v14
	v_mov_b32_e32 v23, v31
	v_fmamk_f32 v38, v17, 0x3f737871, v11
	v_pk_mul_f32 v[22:23], v[22:23], s[4:5]
	v_fmac_f32_e32 v11, 0xbf737871, v17
	v_add_f32_e32 v1, v23, v38
	v_sub_f32_e32 v7, v11, v23
	v_add_f32_e32 v1, v22, v1
	v_add_f32_e32 v7, v22, v7
	global_load_dwordx2 v[22:23], v63, s[8:9] offset:64
	v_add_f32_e32 v8, v61, v0
	v_add_f32_e32 v11, v0, v39
	v_fmac_f32_e32 v61, -0.5, v11
	v_sub_f32_e32 v11, v6, v0
	v_sub_f32_e32 v12, v28, v39
	v_add_f32_e32 v8, v8, v6
	v_fmamk_f32 v29, v31, 0xbf737871, v61
	v_fmac_f32_e32 v61, 0x3f737871, v31
	v_add_f32_e32 v11, v11, v12
	v_add_f32_e32 v8, v8, v28
	v_mov_b32_e32 v12, v49
	v_fmac_f32_e32 v29, 0x3f167918, v17
	v_fmac_f32_e32 v61, 0xbf167918, v17
	v_add_f32_e32 v50, v8, v39
	v_mov_b32_e32 v25, v13
	v_mov_b32_e32 v8, v45
	v_pk_mul_f32 v[12:13], v[12:13], v[40:41] op_sel_hi:[0,1]
	v_mov_b32_e32 v20, v45
	v_fmac_f32_e32 v29, 0x3e9e377a, v11
	v_fmac_f32_e32 v61, 0x3e9e377a, v11
	v_mov_b32_e32 v11, v9
	v_pk_fma_f32 v[8:9], v[8:9], v[40:41], v[12:13] op_sel:[0,0,1] op_sel_hi:[1,1,0]
	v_pk_fma_f32 v[12:13], v[20:21], v[40:41], v[12:13] op_sel:[0,0,1] op_sel_hi:[0,1,0] neg_lo:[1,0,0] neg_hi:[1,0,0]
	v_mov_b32_e32 v20, v51
	v_mov_b32_e32 v12, v53
	;; [unrolled: 1-line block ×4, first 2 shown]
	v_pk_add_f32 v[46:47], v[10:11], v[24:25] neg_lo:[0,1] neg_hi:[0,1]
	ds_read_b32 v18, v57
	s_waitcnt lgkmcnt(0)
	s_barrier
	v_sub_u32_e32 v38, 0, v56
	v_add_u32_e32 v38, v54, v38
	s_waitcnt vmcnt(0)
	v_pk_mul_f32 v[30:31], v[20:21], v[22:23] op_sel_hi:[0,1]
	v_mov_b32_e32 v20, v53
	v_pk_fma_f32 v[12:13], v[12:13], v[22:23], v[30:31] op_sel:[0,0,1] op_sel_hi:[1,1,0]
	v_pk_fma_f32 v[22:23], v[20:21], v[22:23], v[30:31] op_sel:[0,0,1] op_sel_hi:[0,1,0] neg_lo:[1,0,0] neg_hi:[1,0,0]
	v_mov_b32_e32 v13, v23
	v_pk_add_f32 v[22:23], v[16:17], v[10:11]
	v_pk_add_f32 v[48:49], v[12:13], v[8:9] neg_lo:[0,1] neg_hi:[0,1]
	v_pk_add_f32 v[22:23], v[22:23], v[24:25]
	v_pk_add_f32 v[30:31], v[24:25], v[8:9]
	v_pk_add_f32 v[42:43], v[10:11], v[12:13] neg_lo:[0,1] neg_hi:[0,1]
	v_pk_add_f32 v[46:47], v[46:47], v[48:49]
	v_pk_add_f32 v[48:49], v[24:25], v[8:9] neg_lo:[0,1] neg_hi:[0,1]
	v_pk_add_f32 v[24:25], v[24:25], v[10:11] neg_lo:[0,1] neg_hi:[0,1]
	v_pk_add_f32 v[10:11], v[10:11], v[12:13]
	v_pk_add_f32 v[22:23], v[22:23], v[8:9]
	v_pk_fma_f32 v[30:31], -0.5, v[30:31], v[16:17] op_sel_hi:[0,1,1]
	v_pk_mul_f32 v[40:41], v[42:43], s[0:1] op_sel_hi:[1,0]
	v_fmac_f32_e32 v15, -0.5, v11
	v_pk_add_f32 v[22:23], v[22:23], v[12:13]
	v_pk_add_f32 v[44:45], v[30:31], v[40:41] op_sel:[0,1] op_sel_hi:[1,0]
	v_pk_add_f32 v[8:9], v[8:9], v[12:13] neg_lo:[0,1] neg_hi:[0,1]
	v_pk_mul_f32 v[12:13], v[48:49], s[2:3] op_sel_hi:[1,0]
	s_mov_b32 s2, s3
	v_pk_add_f32 v[30:31], v[30:31], v[40:41] op_sel:[0,1] op_sel_hi:[1,0] neg_lo:[0,1] neg_hi:[0,1]
	v_fmamk_f32 v40, v48, 0xbf737871, v15
	v_fmac_f32_e32 v15, 0x3f737871, v48
	v_fmac_f32_e32 v16, -0.5, v10
	v_pk_add_f32 v[44:45], v[12:13], v[44:45] op_sel:[1,0] op_sel_hi:[0,1]
	v_pk_add_f32 v[8:9], v[24:25], v[8:9]
	v_pk_mul_f32 v[24:25], v[46:47], s[2:3] op_sel_hi:[1,0]
	v_fmac_f32_e32 v40, 0x3f167918, v42
	v_fmac_f32_e32 v15, 0xbf167918, v42
	v_pk_add_f32 v[12:13], v[30:31], v[12:13] op_sel:[0,1] op_sel_hi:[1,0] neg_lo:[0,1] neg_hi:[0,1]
	v_fmamk_f32 v42, v49, 0x3f737871, v16
	v_fmac_f32_e32 v16, 0xbf737871, v49
	v_add_f32_e32 v17, v25, v45
	v_fmac_f32_e32 v15, 0x3e9e377a, v9
	v_mov_b32_e32 v45, v13
	v_fmac_f32_e32 v42, 0xbf167918, v43
	v_fmac_f32_e32 v16, 0x3f167918, v43
	v_add_f32_e32 v41, v24, v12
	v_pk_fma_f32 v[24:25], v[46:47], s[2:3], v[44:45] op_sel_hi:[1,0,1]
	v_fmac_f32_e32 v42, 0x3e9e377a, v8
	v_fmac_f32_e32 v16, 0x3e9e377a, v8
	s_mov_b32 s3, 0x3f4f1bbd
	v_mul_f32_e32 v8, 0x3e9e377a, v15
	s_mov_b32 s2, s1
	v_fmac_f32_e32 v40, 0x3e9e377a, v9
	v_fma_f32 v30, v16, s0, -v8
	v_pk_mul_f32 v[8:9], v[24:25], s[2:3]
	v_add_f32_e32 v10, v50, v23
	v_mul_f32_e32 v11, 0x3f167918, v41
	v_sub_f32_e32 v8, v8, v9
	v_sub_f32_e32 v43, v50, v23
	v_mov_b32_e32 v23, 2
	v_fmac_f32_e32 v11, 0x3f4f1bbd, v17
	v_mul_f32_e32 v13, 0x3f737871, v42
	v_add_f32_e32 v9, v7, v8
	v_sub_f32_e32 v7, v7, v8
	v_mul_u32_u24_e32 v8, 0xc8, v55
	v_lshlrev_b32_sdwa v23, v23, v60 dst_sel:DWORD dst_unused:UNUSED_PAD src0_sel:DWORD src1_sel:BYTE_0
	v_add_f32_e32 v12, v1, v11
	v_fmac_f32_e32 v13, 0x3e9e377a, v40
	v_sub_f32_e32 v1, v1, v11
	v_add3_u32 v23, 0, v8, v23
	v_add_f32_e32 v20, v29, v13
	v_add_f32_e32 v31, v61, v30
	v_sub_f32_e32 v11, v29, v13
	v_sub_f32_e32 v13, v61, v30
	ds_write2_b32 v23, v10, v12 offset1:5
	ds_write2_b32 v23, v20, v31 offset0:10 offset1:15
	ds_write2_b32 v23, v9, v43 offset0:20 offset1:25
	;; [unrolled: 1-line block ×4, first 2 shown]
	v_add_u32_e32 v1, 0x600, v57
	s_waitcnt lgkmcnt(0)
	s_barrier
	ds_read2_b32 v[12:13], v1 offset0:66 offset1:201
	v_add_u32_e32 v1, 0xb00, v57
	ds_read2_b32 v[10:11], v1 offset0:16 offset1:196
	ds_read_b32 v20, v59
	ds_read2_b32 v[8:9], v62 offset0:11 offset1:146
	ds_read_b32 v29, v57
	ds_read_b32 v1, v37
	v_sub_u32_e32 v43, 0, v58
	v_cmp_lt_u32_e64 s[2:3], 44, v32
	v_cmp_gt_u32_e64 s[0:1], 45, v32
                                        ; implicit-def: $vgpr30
                                        ; implicit-def: $vgpr31
	s_and_saveexec_b64 s[4:5], s[0:1]
	s_cbranch_execz .LBB0_15
; %bb.14:
	ds_read_b32 v7, v36
	ds_read_b32 v31, v38 offset:3420
	ds_read_b32 v30, v38 offset:5220
.LBB0_15:
	s_or_b64 exec, exec, s[4:5]
	v_add_f32_e32 v45, v21, v19
	v_fma_f32 v45, -0.5, v45, v18
	v_sub_f32_e32 v0, v0, v39
	v_fmamk_f32 v39, v0, 0xbf737871, v45
	v_sub_f32_e32 v6, v6, v28
	v_sub_f32_e32 v28, v27, v21
	;; [unrolled: 1-line block ×3, first 2 shown]
	v_fmac_f32_e32 v45, 0x3f737871, v0
	v_fmac_f32_e32 v39, 0xbf167918, v6
	v_add_f32_e32 v28, v28, v46
	v_fmac_f32_e32 v45, 0x3f167918, v6
	v_add_f32_e32 v44, v18, v27
	v_fmac_f32_e32 v39, 0x3e9e377a, v28
	v_fmac_f32_e32 v45, 0x3e9e377a, v28
	v_add_f32_e32 v28, v27, v14
	v_add_f32_e32 v44, v44, v21
	v_fmac_f32_e32 v18, -0.5, v28
	v_add_f32_e32 v44, v44, v19
	v_fmamk_f32 v28, v6, 0x3f737871, v18
	v_fmac_f32_e32 v18, 0xbf737871, v6
	v_add_f32_e32 v44, v44, v14
	v_fmac_f32_e32 v28, 0xbf167918, v0
	v_sub_f32_e32 v21, v21, v27
	v_sub_f32_e32 v14, v19, v14
	v_fmac_f32_e32 v18, 0x3f167918, v0
	v_mul_f32_e32 v0, 0xbf167918, v17
	v_add_f32_e32 v14, v21, v14
	v_fmac_f32_e32 v0, 0x3f4f1bbd, v41
	v_mul_f32_e32 v17, 0xbf737871, v40
	v_mul_f32_e32 v16, 0x3e9e377a, v16
	;; [unrolled: 1-line block ×3, first 2 shown]
	v_fmac_f32_e32 v28, 0x3e9e377a, v14
	v_fmac_f32_e32 v18, 0x3e9e377a, v14
	v_add_f32_e32 v6, v44, v22
	v_add_f32_e32 v14, v39, v0
	v_fmac_f32_e32 v17, 0x3e9e377a, v42
	v_fma_f32 v15, v15, s13, -v16
	v_fma_f32 v21, v25, s12, -v21
	v_add_f32_e32 v19, v28, v17
	v_add_f32_e32 v16, v18, v15
	v_add_f32_e32 v24, v45, v21
	v_sub_f32_e32 v22, v44, v22
	v_sub_f32_e32 v25, v39, v0
	v_sub_f32_e32 v17, v28, v17
	v_sub_f32_e32 v15, v18, v15
	v_sub_f32_e32 v0, v45, v21
	s_waitcnt lgkmcnt(0)
	s_barrier
	ds_write2_b32 v23, v6, v14 offset1:5
	ds_write2_b32 v23, v19, v16 offset0:10 offset1:15
	ds_write2_b32 v23, v24, v22 offset0:20 offset1:25
	;; [unrolled: 1-line block ×4, first 2 shown]
	v_add_u32_e32 v6, 0x600, v38
	s_waitcnt lgkmcnt(0)
	s_barrier
	ds_read2_b32 v[18:19], v6 offset0:66 offset1:201
	v_add_u32_e32 v6, 0xb00, v38
	ds_read2_b32 v[14:15], v6 offset0:16 offset1:196
	v_add_u32_e32 v6, 0x1000, v38
	v_add_u32_e32 v39, v26, v43
	ds_read2_b32 v[16:17], v6 offset0:11 offset1:146
	ds_read_b32 v28, v38
	ds_read_b32 v25, v39
	;; [unrolled: 1-line block ×3, first 2 shown]
                                        ; implicit-def: $vgpr21
                                        ; implicit-def: $vgpr40
	s_and_saveexec_b64 s[4:5], s[0:1]
	s_cbranch_execz .LBB0_17
; %bb.16:
	ds_read_b32 v0, v36
	ds_read_b32 v40, v38 offset:3420
	ds_read_b32 v21, v38 offset:5220
.LBB0_17:
	s_or_b64 exec, exec, s[4:5]
	v_mov_b32_e32 v6, 41
	v_mul_lo_u16_sdwa v6, v32, v6 dst_sel:DWORD dst_unused:UNUSED_PAD src0_sel:BYTE_0 src1_sel:DWORD
	v_lshrrev_b16_e32 v22, 1, v34
	v_lshrrev_b16_e32 v66, 11, v6
	v_mul_u32_u24_e32 v22, 0x147b, v22
	v_mul_lo_u16_e32 v6, 50, v66
	v_lshrrev_b32_e32 v68, 17, v22
	v_sub_u16_e32 v67, v32, v6
	v_mov_b32_e32 v6, 4
	v_mul_lo_u16_e32 v22, 50, v68
	v_lshlrev_b32_sdwa v6, v6, v67 dst_sel:DWORD dst_unused:UNUSED_PAD src0_sel:DWORD src1_sel:BYTE_0
	v_sub_u16_e32 v69, v34, v22
	v_lshrrev_b16_e32 v26, 1, v35
	v_lshlrev_b32_e32 v22, 4, v69
	global_load_dwordx4 v[50:53], v6, s[8:9] offset:360
	global_load_dwordx4 v[54:57], v22, s[8:9] offset:360
	v_mul_u32_u24_e32 v6, 0x147b, v26
	v_lshrrev_b32_e32 v70, 17, v6
	v_mul_lo_u16_e32 v6, 50, v70
	v_sub_u16_e32 v71, v35, v6
	v_lshlrev_b32_e32 v6, 4, v71
	v_lshrrev_b16_e32 v27, 1, v33
	global_load_dwordx4 v[58:61], v6, s[8:9] offset:360
	v_mul_u32_u24_e32 v6, 0x147b, v27
	v_lshrrev_b32_e32 v6, 17, v6
	v_mul_lo_u16_e32 v6, 50, v6
	v_sub_u16_e32 v43, v33, v6
	v_lshlrev_b32_e32 v6, 4, v43
	global_load_dwordx4 v[62:65], v6, s[8:9] offset:360
	v_mov_b32_e32 v6, 0x3f5db3d7
	s_waitcnt lgkmcnt(0)
	s_barrier
	s_waitcnt vmcnt(3)
	v_mul_f32_e32 v22, v18, v51
	v_mul_f32_e32 v45, v12, v51
	;; [unrolled: 1-line block ×4, first 2 shown]
	s_waitcnt vmcnt(2)
	v_mul_f32_e32 v51, v19, v55
	v_mul_f32_e32 v42, v13, v55
	;; [unrolled: 1-line block ×3, first 2 shown]
	v_fma_f32 v48, v12, v50, -v22
	s_waitcnt vmcnt(1)
	v_mul_f32_e32 v55, v14, v59
	v_mul_f32_e32 v44, v8, v57
	;; [unrolled: 1-line block ×3, first 2 shown]
	v_fmac_f32_e32 v45, v18, v50
	v_fma_f32 v49, v11, v52, -v23
	v_fmac_f32_e32 v46, v15, v52
	s_waitcnt vmcnt(0)
	v_mul_f32_e32 v22, v31, v63
	v_mul_f32_e32 v12, v30, v65
	;; [unrolled: 1-line block ×5, first 2 shown]
	v_fma_f32 v50, v13, v54, -v51
	v_mul_f32_e32 v13, v40, v63
	v_mul_f32_e32 v15, v21, v65
	v_fma_f32 v52, v8, v56, -v53
	v_fma_f32 v51, v10, v58, -v55
	v_fmac_f32_e32 v22, v40, v62
	v_fmac_f32_e32 v12, v21, v64
	;; [unrolled: 1-line block ×4, first 2 shown]
	v_fma_f32 v53, v9, v60, -v11
	v_fmac_f32_e32 v47, v17, v60
	v_fma_f32 v9, v30, v64, -v15
	v_add_f32_e32 v14, v48, v49
	v_add_f32_e32 v15, v20, v50
	;; [unrolled: 1-line block ×4, first 2 shown]
	v_pk_add_f32 v[10:11], v[22:23], v[12:13] neg_lo:[0,1] neg_hi:[0,1]
	v_fmac_f32_e32 v42, v19, v54
	v_add_f32_e32 v8, v29, v48
	v_fmac_f32_e32 v29, -0.5, v14
	v_add_f32_e32 v31, v15, v52
	v_fmac_f32_e32 v20, -0.5, v16
	v_add_f32_e32 v54, v17, v53
	v_pk_mul_f32 v[16:17], v[6:7], v[10:11]
	v_pk_add_f32 v[14:15], v[6:7], v[10:11]
	v_add_f32_e32 v6, v11, v9
	v_fmac_f32_e32 v7, -0.5, v6
	v_add_f32_e32 v13, v8, v49
	v_mov_b32_e32 v17, v15
	v_mov_b32_e32 v8, v7
	v_pk_add_f32 v[14:15], v[16:17], v[8:9]
	v_mov_b32_e32 v8, 2
	v_mul_u32_u24_e32 v6, 0x258, v66
	v_lshlrev_b32_sdwa v8, v8, v67 dst_sel:DWORD dst_unused:UNUSED_PAD src0_sel:DWORD src1_sel:BYTE_0
	v_add_f32_e32 v21, v51, v53
	v_add3_u32 v10, 0, v6, v8
	v_mul_u32_u24_e32 v6, 0x258, v68
	v_lshlrev_b32_e32 v8, 2, v69
	v_sub_f32_e32 v18, v45, v46
	v_sub_f32_e32 v19, v42, v44
	;; [unrolled: 1-line block ×3, first 2 shown]
	v_fmac_f32_e32 v1, -0.5, v21
	v_add3_u32 v23, 0, v6, v8
	v_mul_u32_u24_e32 v6, 0x258, v70
	v_lshlrev_b32_e32 v8, 2, v71
	v_fmamk_f32 v21, v18, 0x3f5db3d7, v29
	v_fmac_f32_e32 v29, 0xbf5db3d7, v18
	v_fmamk_f32 v18, v19, 0x3f5db3d7, v20
	v_fmac_f32_e32 v20, 0xbf5db3d7, v19
	v_fmamk_f32 v19, v30, 0x3f5db3d7, v1
	v_add3_u32 v40, 0, v6, v8
	v_fmac_f32_e32 v1, 0xbf5db3d7, v30
	ds_write2_b32 v10, v13, v21 offset1:50
	ds_write_b32 v10, v29 offset:400
	ds_write2_b32 v23, v31, v18 offset1:50
	ds_write_b32 v23, v20 offset:400
	ds_write2_b32 v40, v54, v19 offset1:50
	ds_write_b32 v40, v1 offset:400
                                        ; implicit-def: $vgpr6
	s_and_saveexec_b64 s[4:5], s[2:3]
	s_xor_b64 s[4:5], exec, s[4:5]
; %bb.18:
	v_mov_b32_e32 v6, v15
; %bb.19:
	s_or_saveexec_b64 s[4:5], s[4:5]
	v_sub_f32_e32 v7, v7, v16
	v_lshl_add_u32 v29, v43, 2, 0
	s_xor_b64 exec, exec, s[4:5]
	s_cbranch_execz .LBB0_21
; %bb.20:
	v_add_u32_e32 v1, 0x1000, v29
	v_mov_b32_e32 v6, v15
	ds_write2_b32 v1, v15, v14 offset0:176 offset1:226
	ds_write_b32 v29, v7 offset:5200
.LBB0_21:
	s_or_b64 exec, exec, s[4:5]
	v_add_u32_e32 v1, 0x600, v38
	s_waitcnt lgkmcnt(0)
	s_barrier
	ds_read2_b32 v[20:21], v1 offset0:66 offset1:201
	v_add_u32_e32 v1, 0xb00, v38
	ds_read2_b32 v[16:17], v1 offset0:16 offset1:196
	v_add_u32_e32 v1, 0x1000, v38
	ds_read2_b32 v[18:19], v1 offset0:11 offset1:146
	ds_read_b32 v43, v38
	ds_read_b32 v31, v39
	;; [unrolled: 1-line block ×3, first 2 shown]
	s_and_saveexec_b64 s[4:5], s[2:3]
	s_xor_b64 s[4:5], exec, s[4:5]
; %bb.22:
	v_mov_b32_e32 v15, v6
; %bb.23:
	s_andn2_saveexec_b64 s[4:5], s[4:5]
	s_cbranch_execz .LBB0_25
; %bb.24:
	ds_read_b32 v15, v36
	ds_read_b32 v14, v38 offset:3420
	ds_read_b32 v7, v38 offset:5220
	s_waitcnt lgkmcnt(2)
	v_mov_b32_e32 v6, v15
.LBB0_25:
	s_or_b64 exec, exec, s[4:5]
	v_add_f32_e32 v1, v28, v45
	v_add_f32_e32 v54, v1, v46
	;; [unrolled: 1-line block ×3, first 2 shown]
	v_fmac_f32_e32 v28, -0.5, v1
	v_sub_f32_e32 v1, v48, v49
	v_fmamk_f32 v48, v1, 0xbf5db3d7, v28
	v_fmac_f32_e32 v28, 0x3f5db3d7, v1
	v_add_f32_e32 v1, v25, v42
	v_add_f32_e32 v49, v1, v44
	;; [unrolled: 1-line block ×3, first 2 shown]
	v_fmac_f32_e32 v25, -0.5, v1
	v_sub_f32_e32 v1, v50, v52
	v_fmamk_f32 v42, v1, 0xbf5db3d7, v25
	v_fmac_f32_e32 v25, 0x3f5db3d7, v1
	v_add_f32_e32 v1, v24, v41
	v_add_f32_e32 v50, v1, v47
	;; [unrolled: 1-line block ×3, first 2 shown]
	v_fmac_f32_e32 v24, -0.5, v1
	v_sub_f32_e32 v1, v51, v53
	v_sub_f32_e32 v44, v11, v9
	v_mov_b32_e32 v46, 0x3f5db3d7
	v_mov_b32_e32 v47, v0
	;; [unrolled: 1-line block ×3, first 2 shown]
	v_fmamk_f32 v41, v1, 0xbf5db3d7, v24
	v_fmac_f32_e32 v24, 0x3f5db3d7, v1
	v_add_f32_e32 v1, v22, v12
	v_pk_mul_f32 v[8:9], v[46:47], v[44:45]
	v_pk_add_f32 v[44:45], v[46:47], v[44:45]
	v_fmac_f32_e32 v0, -0.5, v1
	v_mov_b32_e32 v9, v45
	v_mov_b32_e32 v1, v12
	v_pk_add_f32 v[12:13], v[8:9], v[0:1]
	s_waitcnt lgkmcnt(0)
	s_barrier
	ds_write2_b32 v10, v54, v48 offset1:50
	ds_write_b32 v10, v28 offset:400
	ds_write2_b32 v23, v49, v42 offset1:50
	ds_write_b32 v23, v25 offset:400
	;; [unrolled: 2-line block ×3, first 2 shown]
                                        ; implicit-def: $vgpr10
	s_and_saveexec_b64 s[4:5], s[2:3]
	s_xor_b64 s[4:5], exec, s[4:5]
; %bb.26:
	v_mov_b32_e32 v10, v13
                                        ; implicit-def: $vgpr29
; %bb.27:
	s_or_saveexec_b64 s[4:5], s[4:5]
	v_sub_f32_e32 v55, v0, v8
	s_xor_b64 exec, exec, s[4:5]
	s_cbranch_execz .LBB0_29
; %bb.28:
	v_add_u32_e32 v0, 0x1000, v29
	v_mov_b32_e32 v10, v13
	ds_write2_b32 v0, v13, v55 offset0:176 offset1:226
	ds_write_b32 v29, v12 offset:5200
.LBB0_29:
	s_or_b64 exec, exec, s[4:5]
	v_add_u32_e32 v0, 0x600, v38
	s_waitcnt lgkmcnt(0)
	s_barrier
	ds_read2_b32 v[24:25], v0 offset0:66 offset1:201
	v_add_u32_e32 v0, 0xb00, v38
	v_add_u32_e32 v8, 0x1000, v38
	ds_read2_b32 v[0:1], v0 offset0:16 offset1:196
	ds_read2_b32 v[22:23], v8 offset0:11 offset1:146
	ds_read_b32 v42, v38
	ds_read_b32 v41, v39
	;; [unrolled: 1-line block ×3, first 2 shown]
	s_and_saveexec_b64 s[4:5], s[2:3]
	s_xor_b64 s[4:5], exec, s[4:5]
; %bb.30:
	v_mov_b32_e32 v13, v10
; %bb.31:
	s_andn2_saveexec_b64 s[4:5], s[4:5]
	s_cbranch_execz .LBB0_33
; %bb.32:
	ds_read_b32 v13, v36
	ds_read_b32 v55, v38 offset:3420
	ds_read_b32 v12, v38 offset:5220
	s_waitcnt lgkmcnt(2)
	v_mov_b32_e32 v10, v13
.LBB0_33:
	s_or_b64 exec, exec, s[4:5]
	v_add_u32_e32 v11, -15, v32
	v_cmp_gt_u32_e64 s[4:5], 15, v32
	v_lshlrev_b32_e32 v28, 1, v32
	v_mov_b32_e32 v29, 0
	v_cndmask_b32_e64 v70, v11, v34, s[4:5]
	v_mul_u32_u24_e32 v11, 0xda75, v26
	v_mul_u32_u24_e32 v26, 0xda75, v27
	v_lshrrev_b32_e32 v71, 22, v11
	v_lshrrev_b32_e32 v11, 22, v26
	v_mul_lo_u16_e32 v26, 0x96, v71
	v_lshl_add_u64 v[8:9], v[28:29], 3, s[8:9]
	v_lshlrev_b32_e32 v28, 1, v70
	v_sub_u16_e32 v72, v35, v26
	v_mul_lo_u16_e32 v11, 0x96, v11
	global_load_dwordx4 v[46:49], v[8:9], off offset:1160
	v_lshl_add_u64 v[28:29], v[28:29], 3, s[8:9]
	v_lshlrev_b32_e32 v26, 4, v72
	global_load_dwordx4 v[60:63], v26, s[8:9] offset:1160
	v_sub_u16_e32 v11, v33, v11
	global_load_dwordx4 v[56:59], v[28:29], off offset:1160
	v_lshlrev_b32_e32 v26, 4, v11
	global_load_dwordx4 v[64:67], v26, s[8:9] offset:1160
	v_mov_b32_e32 v68, 0x3f5db3d7
	v_mov_b32_e32 v69, v15
	s_waitcnt lgkmcnt(0)
	s_barrier
	v_mov_b32_e32 v73, 0x708
	v_cmp_lt_u32_e64 s[4:5], 14, v32
	s_waitcnt vmcnt(3)
	v_mul_f32_e32 v26, v24, v47
	v_mul_f32_e32 v45, v20, v47
	;; [unrolled: 1-line block ×4, first 2 shown]
	v_fma_f32 v44, v20, v46, -v26
	v_fmac_f32_e32 v45, v24, v46
	v_fma_f32 v46, v17, v48, -v27
	v_fmac_f32_e32 v47, v1, v48
	s_waitcnt vmcnt(1)
	v_mul_f32_e32 v1, v25, v57
	v_mul_f32_e32 v48, v21, v57
	;; [unrolled: 1-line block ×3, first 2 shown]
	v_add_f32_e32 v24, v44, v46
	v_fma_f32 v50, v21, v56, -v1
	v_mul_f32_e32 v1, v0, v61
	s_waitcnt vmcnt(0)
	v_mul_f32_e32 v28, v14, v65
	v_mul_f32_e32 v26, v7, v67
	;; [unrolled: 1-line block ×3, first 2 shown]
	v_add_f32_e32 v20, v43, v44
	v_sub_f32_e32 v57, v45, v47
	v_fmac_f32_e32 v48, v25, v56
	v_fma_f32 v52, v18, v58, -v17
	v_mul_f32_e32 v25, v16, v61
	v_mul_f32_e32 v17, v23, v63
	;; [unrolled: 1-line block ×5, first 2 shown]
	v_fmac_f32_e32 v43, -0.5, v24
	v_fma_f32 v53, v16, v60, -v1
	v_fmac_f32_e32 v28, v55, v64
	v_fmac_f32_e32 v26, v12, v66
	v_add_f32_e32 v1, v31, v50
	v_fmac_f32_e32 v49, v22, v58
	v_mul_f32_e32 v51, v19, v63
	v_add_f32_e32 v22, v20, v46
	v_fmac_f32_e32 v25, v0, v60
	v_fma_f32 v54, v19, v62, -v17
	v_fmamk_f32 v0, v57, 0x3f5db3d7, v43
	v_add_f32_e32 v16, v50, v52
	v_fma_f32 v7, v7, v66, -v18
	v_add_f32_e32 v18, v1, v52
	v_add_f32_e32 v1, v30, v53
	v_pk_add_f32 v[20:21], v[28:29], v[26:27] neg_lo:[0,1] neg_hi:[0,1]
	v_fmac_f32_e32 v51, v23, v62
	v_fmac_f32_e32 v43, 0xbf5db3d7, v57
	v_sub_f32_e32 v17, v48, v49
	v_fmac_f32_e32 v31, -0.5, v16
	v_add_f32_e32 v16, v53, v54
	ds_write2_b32 v38, v22, v0 offset1:150
	ds_write_b32 v38, v43 offset:1200
	v_add_f32_e32 v23, v1, v54
	v_pk_add_f32 v[0:1], v[14:15], v[20:21]
	v_fmamk_f32 v22, v17, 0x3f5db3d7, v31
	v_fmac_f32_e32 v31, 0xbf5db3d7, v17
	v_fmac_f32_e32 v30, -0.5, v16
	v_pk_mul_f32 v[16:17], v[68:69], v[20:21]
	v_add_f32_e32 v0, v21, v7
	v_mov_b32_e32 v17, v1
	v_fmac_f32_e32 v6, -0.5, v0
	v_pk_add_f32 v[0:1], v[16:17], v[6:7]
	v_cndmask_b32_e64 v15, 0, v73, s[4:5]
	v_lshlrev_b32_e32 v17, 2, v70
	v_add3_u32 v15, 0, v15, v17
	v_sub_f32_e32 v19, v25, v51
	ds_write2_b32 v15, v18, v22 offset1:150
	ds_write_b32 v15, v31 offset:1200
	v_mul_u32_u24_e32 v17, 0x708, v71
	v_lshlrev_b32_e32 v18, 2, v72
	v_fmamk_f32 v14, v19, 0x3f5db3d7, v30
	v_add3_u32 v31, 0, v17, v18
	v_fmac_f32_e32 v30, 0xbf5db3d7, v19
	ds_write2_b32 v31, v23, v14 offset1:150
	ds_write_b32 v31, v30 offset:1200
	s_and_saveexec_b64 s[4:5], s[2:3]
	s_xor_b64 s[4:5], exec, s[4:5]
	s_or_saveexec_b64 s[4:5], s[4:5]
	v_sub_f32_e32 v6, v6, v16
	v_lshl_add_u32 v27, v11, 2, 0
	s_xor_b64 exec, exec, s[4:5]
	s_cbranch_execz .LBB0_35
; %bb.34:
	v_add_u32_e32 v11, 0xe00, v27
	ds_write2_b32 v11, v1, v0 offset0:4 offset1:154
	ds_write_b32 v27, v6 offset:4800
.LBB0_35:
	s_or_b64 exec, exec, s[4:5]
	v_add_u32_e32 v11, 0x600, v38
	s_waitcnt lgkmcnt(0)
	s_barrier
	ds_read2_b32 v[22:23], v11 offset0:66 offset1:201
	v_add_u32_e32 v11, 0xb00, v38
	ds_read2_b32 v[18:19], v11 offset0:16 offset1:196
	v_add_u32_e32 v11, 0x1000, v38
	ds_read2_b32 v[16:17], v11 offset0:11 offset1:146
	ds_read_b32 v24, v38
	ds_read_b32 v20, v39
	;; [unrolled: 1-line block ×3, first 2 shown]
	s_and_saveexec_b64 s[4:5], s[2:3]
	s_xor_b64 s[4:5], exec, s[4:5]
	s_andn2_saveexec_b64 s[4:5], s[4:5]
	s_cbranch_execz .LBB0_37
; %bb.36:
	ds_read_b32 v1, v36
	ds_read_b32 v0, v38 offset:3420
	ds_read_b32 v6, v38 offset:5220
.LBB0_37:
	s_or_b64 exec, exec, s[4:5]
	v_add_f32_e32 v11, v42, v45
	v_add_f32_e32 v30, v11, v47
	;; [unrolled: 1-line block ×3, first 2 shown]
	v_fmac_f32_e32 v42, -0.5, v11
	v_sub_f32_e32 v11, v44, v46
	v_fmamk_f32 v43, v11, 0xbf5db3d7, v42
	v_fmac_f32_e32 v42, 0x3f5db3d7, v11
	v_add_f32_e32 v11, v41, v48
	v_add_f32_e32 v55, v11, v49
	;; [unrolled: 1-line block ×3, first 2 shown]
	v_fmac_f32_e32 v41, -0.5, v11
	v_sub_f32_e32 v11, v50, v52
	v_fmamk_f32 v48, v11, 0xbf5db3d7, v41
	v_fmac_f32_e32 v41, 0x3f5db3d7, v11
	v_add_f32_e32 v11, v40, v25
	v_add_f32_e32 v49, v11, v51
	;; [unrolled: 1-line block ×3, first 2 shown]
	v_fmac_f32_e32 v40, -0.5, v11
	v_sub_f32_e32 v11, v53, v54
	v_sub_f32_e32 v44, v21, v7
	v_mov_b32_e32 v46, 0x3f5db3d7
	v_mov_b32_e32 v47, v13
	v_mov_b32_e32 v45, v28
	v_fmamk_f32 v25, v11, 0xbf5db3d7, v40
	v_fmac_f32_e32 v40, 0x3f5db3d7, v11
	v_add_f32_e32 v11, v28, v26
	v_pk_mul_f32 v[28:29], v[46:47], v[44:45]
	v_pk_add_f32 v[12:13], v[12:13], v[44:45]
	v_fmac_f32_e32 v10, -0.5, v11
	v_mov_b32_e32 v29, v13
	v_mov_b32_e32 v11, v26
	v_pk_add_f32 v[12:13], v[28:29], v[10:11]
	s_waitcnt lgkmcnt(0)
	s_barrier
	ds_write2_b32 v38, v30, v43 offset1:150
	ds_write_b32 v38, v42 offset:1200
	ds_write2_b32 v15, v55, v48 offset1:150
	ds_write_b32 v15, v41 offset:1200
	;; [unrolled: 2-line block ×3, first 2 shown]
	s_and_saveexec_b64 s[4:5], s[2:3]
	s_xor_b64 s[4:5], exec, s[4:5]
; %bb.38:
                                        ; implicit-def: $vgpr27
; %bb.39:
	s_or_saveexec_b64 s[4:5], s[4:5]
	v_sub_f32_e32 v10, v10, v28
	s_xor_b64 exec, exec, s[4:5]
	s_cbranch_execz .LBB0_41
; %bb.40:
	v_add_u32_e32 v7, 0xe00, v27
	ds_write2_b32 v7, v13, v10 offset0:4 offset1:154
	ds_write_b32 v27, v12 offset:4800
.LBB0_41:
	s_or_b64 exec, exec, s[4:5]
	v_add_u32_e32 v7, 0x600, v38
	s_waitcnt lgkmcnt(0)
	s_barrier
	ds_read2_b32 v[30:31], v7 offset0:66 offset1:201
	v_add_u32_e32 v7, 0xb00, v38
	ds_read2_b32 v[28:29], v7 offset0:16 offset1:196
	v_add_u32_e32 v7, 0x1000, v38
	ds_read2_b32 v[26:27], v7 offset0:11 offset1:146
	ds_read_b32 v25, v38
	ds_read_b32 v21, v39
	;; [unrolled: 1-line block ×3, first 2 shown]
	s_and_saveexec_b64 s[4:5], s[2:3]
	s_xor_b64 s[2:3], exec, s[4:5]
	s_cbranch_execnz .LBB0_45
; %bb.42:
	s_andn2_saveexec_b64 s[2:3], s[2:3]
	s_cbranch_execnz .LBB0_46
.LBB0_43:
	s_or_b64 exec, exec, s[2:3]
	s_and_saveexec_b64 s[2:3], vcc
	s_cbranch_execnz .LBB0_47
.LBB0_44:
	s_endpgm
.LBB0_45:
                                        ; implicit-def: $vgpr36
                                        ; implicit-def: $vgpr38
	s_andn2_saveexec_b64 s[2:3], s[2:3]
	s_cbranch_execz .LBB0_43
.LBB0_46:
	ds_read_b32 v13, v36
	ds_read_b32 v10, v38 offset:3420
	ds_read_b32 v12, v38 offset:5220
	s_or_b64 exec, exec, s[2:3]
	s_and_saveexec_b64 s[2:3], vcc
	s_cbranch_execz .LBB0_44
.LBB0_47:
	global_load_dwordx4 v[36:39], v[8:9], off offset:3560
	v_mul_lo_u32 v7, s11, v4
	v_mul_lo_u32 v11, s10, v5
	v_mad_u64_u32 v[8:9], s[2:3], s10, v4, 0
	v_lshlrev_b32_e32 v4, 1, v35
	v_mov_b32_e32 v5, 0
	v_lshl_add_u64 v[44:45], v[4:5], 3, s[8:9]
	v_lshlrev_b32_e32 v4, 1, v34
	v_lshl_add_u64 v[34:35], v[4:5], 3, s[8:9]
	global_load_dwordx4 v[40:43], v[34:35], off offset:3560
	s_mov_b32 s4, 0x91a2b3c5
	global_load_dwordx4 v[44:47], v[44:45], off offset:3560
	v_mov_b32_e32 v50, v19
	v_mov_b32_e32 v52, v19
	v_add_u32_e32 v19, 0x87, v32
	v_add3_u32 v9, v9, v11, v7
	v_mul_hi_u32 v7, v32, s4
	v_mul_hi_u32 v11, v19, s4
	v_lshrrev_b32_e32 v4, 8, v7
	v_lshl_add_u64 v[8:9], v[8:9], 3, s[6:7]
	v_lshrrev_b32_e32 v7, 8, v11
	v_mul_u32_u24_e32 v4, 0x1c2, v4
	v_lshl_add_u64 v[2:3], v[2:3], 3, v[8:9]
	v_mul_u32_u24_e32 v8, 0x1c2, v7
	v_sub_u32_e32 v11, v32, v4
	s_movk_i32 s5, 0x546
	v_sub_u32_e32 v4, v19, v8
	v_mad_u64_u32 v[8:9], s[6:7], s16, v11, 0
	v_add_u32_e32 v19, 0x1c2, v11
	s_waitcnt lgkmcnt(4)
	v_mov_b32_e32 v48, v29
	v_add_u32_e32 v29, 0x384, v11
	v_mad_u32_u24 v7, v7, s5, v4
	v_mov_b32_e32 v4, v9
	v_mad_u64_u32 v[34:35], s[6:7], s16, v19, 0
	v_mad_u64_u32 v[54:55], s[6:7], s16, v29, 0
	;; [unrolled: 1-line block ×3, first 2 shown]
	v_mov_b32_e32 v4, v35
	v_mov_b32_e32 v60, v55
	;; [unrolled: 1-line block ×3, first 2 shown]
	v_mad_u64_u32 v[58:59], s[6:7], s17, v19, v[4:5]
	v_add_u32_e32 v53, 0x1c2, v7
	v_mad_u64_u32 v[60:61], s[6:7], s17, v29, v[60:61]
	v_mov_b32_e32 v35, v58
	v_mov_b32_e32 v55, v60
	s_movk_i32 s3, 0x1c2
	s_mov_b32 s2, 0x3f5db3d7
	v_mad_u64_u32 v[56:57], s[6:7], s16, v7, 0
	v_mov_b32_e32 v62, v57
	v_mad_u64_u32 v[64:65], s[6:7], s16, v53, 0
	v_mad_u64_u32 v[62:63], s[6:7], s17, v7, v[62:63]
	v_lshl_add_u64 v[8:9], v[8:9], 3, v[2:3]
	v_add_u32_e32 v7, 0x384, v7
	v_mov_b32_e32 v4, v65
	v_lshl_add_u64 v[34:35], v[34:35], 3, v[2:3]
	v_lshl_add_u64 v[54:55], v[54:55], 3, v[2:3]
	v_mov_b32_e32 v57, v62
	v_lshl_add_u64 v[56:57], v[56:57], 3, v[2:3]
	s_waitcnt vmcnt(2)
	v_pk_mul_f32 v[58:59], v[30:31], v[36:37] op_sel_hi:[0,1]
	v_pk_mul_f32 v[48:49], v[48:49], v[38:39] op_sel_hi:[0,1]
	v_pk_fma_f32 v[60:61], v[22:23], v[36:37], v[58:59] op_sel:[0,0,1] op_sel_hi:[1,1,0] neg_lo:[0,0,1] neg_hi:[0,0,1]
	v_pk_fma_f32 v[36:37], v[22:23], v[36:37], v[58:59] op_sel:[0,0,1] op_sel_hi:[0,1,0]
	v_pk_fma_f32 v[50:51], v[50:51], v[38:39], v[48:49] op_sel:[0,0,1] op_sel_hi:[1,1,0] neg_lo:[0,0,1] neg_hi:[0,0,1]
	v_pk_fma_f32 v[38:39], v[52:53], v[38:39], v[48:49] op_sel:[0,0,1] op_sel_hi:[0,1,0]
	v_mov_b32_e32 v61, v37
	v_mov_b32_e32 v51, v39
	v_pk_add_f32 v[36:37], v[60:61], v[50:51]
	v_pk_add_f32 v[38:39], v[60:61], v[50:51] neg_lo:[0,1] neg_hi:[0,1]
	s_waitcnt lgkmcnt(2)
	v_pk_add_f32 v[48:49], v[24:25], v[60:61]
	v_pk_fma_f32 v[24:25], v[36:37], 0.5, v[24:25] op_sel_hi:[1,0,1] neg_lo:[1,0,0] neg_hi:[1,0,0]
	v_pk_mul_f32 v[36:37], v[38:39], s[2:3] op_sel_hi:[1,0]
	v_pk_add_f32 v[38:39], v[48:49], v[50:51]
	v_pk_add_f32 v[48:49], v[24:25], v[36:37] op_sel:[0,1] op_sel_hi:[1,0] neg_lo:[0,1] neg_hi:[0,1]
	v_pk_add_f32 v[24:25], v[24:25], v[36:37] op_sel:[0,1] op_sel_hi:[1,0]
	global_store_dwordx2 v[8:9], v[38:39], off
	v_mov_b32_e32 v8, v24
	v_mov_b32_e32 v9, v49
	;; [unrolled: 1-line block ×3, first 2 shown]
	v_mad_u64_u32 v[24:25], s[6:7], s16, v7, 0
	global_store_dwordx2 v[34:35], v[8:9], off
	global_store_dwordx2 v[54:55], v[48:49], off
	v_mad_u64_u32 v[8:9], s[6:7], s17, v53, v[4:5]
	v_mov_b32_e32 v4, v25
	v_mad_u64_u32 v[34:35], s[6:7], s17, v7, v[4:5]
	v_mov_b32_e32 v4, v31
	s_waitcnt vmcnt(4)
	v_pk_mul_f32 v[30:31], v[4:5], v[40:41] op_sel_hi:[0,1]
	v_mov_b32_e32 v4, v23
	v_mov_b32_e32 v22, v23
	;; [unrolled: 1-line block ×3, first 2 shown]
	v_pk_fma_f32 v[34:35], v[4:5], v[40:41], v[30:31] op_sel:[0,0,1] op_sel_hi:[1,1,0] neg_lo:[0,0,1] neg_hi:[0,0,1]
	v_pk_fma_f32 v[22:23], v[22:23], v[40:41], v[30:31] op_sel:[0,0,1] op_sel_hi:[0,1,0]
	v_mov_b32_e32 v35, v23
	v_pk_mul_f32 v[22:23], v[26:27], v[42:43] op_sel_hi:[0,1]
	v_pk_fma_f32 v[30:31], v[16:17], v[42:43], v[22:23] op_sel:[0,0,1] op_sel_hi:[1,1,0] neg_lo:[0,0,1] neg_hi:[0,0,1]
	v_pk_fma_f32 v[22:23], v[16:17], v[42:43], v[22:23] op_sel:[0,0,1] op_sel_hi:[0,1,0]
	v_mov_b32_e32 v31, v23
	v_pk_add_f32 v[22:23], v[34:35], v[30:31]
	v_pk_add_f32 v[36:37], v[34:35], v[30:31] neg_lo:[0,1] neg_hi:[0,1]
	s_waitcnt lgkmcnt(1)
	v_pk_fma_f32 v[22:23], v[22:23], 0.5, v[20:21] op_sel_hi:[1,0,1] neg_lo:[1,0,0] neg_hi:[1,0,0]
	v_pk_mul_f32 v[36:37], v[36:37], s[2:3] op_sel_hi:[1,0]
	v_pk_add_f32 v[20:21], v[20:21], v[34:35]
	v_add_u32_e32 v4, 0x10e, v32
	v_mov_b32_e32 v65, v8
	v_pk_add_f32 v[38:39], v[22:23], v[36:37] op_sel:[0,1] op_sel_hi:[1,0] neg_lo:[0,1] neg_hi:[0,1]
	v_pk_add_f32 v[22:23], v[22:23], v[36:37] op_sel:[0,1] op_sel_hi:[1,0]
	v_pk_add_f32 v[20:21], v[20:21], v[30:31]
	v_mul_hi_u32 v7, v4, s4
	v_lshl_add_u64 v[8:9], v[64:65], 3, v[2:3]
	global_store_dwordx2 v[56:57], v[20:21], off
	v_mov_b32_e32 v20, v22
	v_mov_b32_e32 v21, v39
	v_lshrrev_b32_e32 v7, 8, v7
	global_store_dwordx2 v[8:9], v[20:21], off
	v_mul_u32_u24_e32 v8, 0x1c2, v7
	v_sub_u32_e32 v4, v4, v8
	v_mad_u32_u24 v7, v7, s5, v4
	v_mad_u64_u32 v[8:9], s[4:5], s16, v7, 0
	v_mov_b32_e32 v4, v9
	v_mad_u64_u32 v[20:21], s[4:5], s17, v7, v[4:5]
	v_add_u32_e32 v11, 0x1c2, v7
	v_mov_b32_e32 v9, v20
	v_mad_u64_u32 v[20:21], s[4:5], s16, v11, 0
	v_mov_b32_e32 v4, v21
	v_mov_b32_e32 v39, v23
	v_mad_u64_u32 v[22:23], s[4:5], s17, v11, v[4:5]
	v_add_u32_e32 v7, 0x384, v7
	v_mov_b32_e32 v21, v22
	v_mad_u64_u32 v[22:23], s[4:5], s16, v7, 0
	v_lshl_add_u64 v[24:25], v[24:25], 3, v[2:3]
	v_mov_b32_e32 v4, v23
	global_store_dwordx2 v[24:25], v[38:39], off
	v_mad_u64_u32 v[24:25], s[4:5], s17, v7, v[4:5]
	v_mov_b32_e32 v23, v24
	s_waitcnt vmcnt(6)
	v_pk_mul_f32 v[24:25], v[28:29], v[44:45] op_sel_hi:[0,1]
	v_pk_fma_f32 v[28:29], v[18:19], v[44:45], v[24:25] op_sel:[0,0,1] op_sel_hi:[1,1,0] neg_lo:[0,0,1] neg_hi:[0,0,1]
	v_pk_fma_f32 v[18:19], v[18:19], v[44:45], v[24:25] op_sel:[0,0,1] op_sel_hi:[0,1,0]
	v_mov_b32_e32 v4, v27
	v_mov_b32_e32 v29, v19
	v_pk_mul_f32 v[18:19], v[4:5], v[46:47] op_sel_hi:[0,1]
	v_mov_b32_e32 v4, v17
	v_mov_b32_e32 v16, v17
	v_pk_fma_f32 v[24:25], v[4:5], v[46:47], v[18:19] op_sel:[0,0,1] op_sel_hi:[1,1,0] neg_lo:[0,0,1] neg_hi:[0,0,1]
	v_pk_fma_f32 v[16:17], v[16:17], v[46:47], v[18:19] op_sel:[0,0,1] op_sel_hi:[0,1,0]
	v_mov_b32_e32 v25, v17
	v_pk_add_f32 v[16:17], v[28:29], v[24:25]
	v_pk_add_f32 v[18:19], v[28:29], v[24:25] neg_lo:[0,1] neg_hi:[0,1]
	s_waitcnt lgkmcnt(0)
	v_pk_fma_f32 v[16:17], v[16:17], 0.5, v[14:15] op_sel_hi:[1,0,1] neg_lo:[1,0,0] neg_hi:[1,0,0]
	v_pk_mul_f32 v[18:19], v[18:19], s[2:3] op_sel_hi:[1,0]
	v_pk_add_f32 v[14:15], v[14:15], v[28:29]
	v_lshl_add_u64 v[8:9], v[8:9], 3, v[2:3]
	v_pk_add_f32 v[26:27], v[16:17], v[18:19] op_sel:[0,1] op_sel_hi:[1,0] neg_lo:[0,1] neg_hi:[0,1]
	v_pk_add_f32 v[16:17], v[16:17], v[18:19] op_sel:[0,1] op_sel_hi:[1,0]
	v_pk_add_f32 v[14:15], v[14:15], v[24:25]
	v_add_u32_e32 v7, 0x195, v32
	v_lshl_add_u64 v[20:21], v[20:21], 3, v[2:3]
	v_lshl_add_u64 v[22:23], v[22:23], 3, v[2:3]
	global_store_dwordx2 v[8:9], v[14:15], off
	v_mov_b32_e32 v8, v16
	v_mov_b32_e32 v9, v27
	;; [unrolled: 1-line block ×3, first 2 shown]
	v_cmp_gt_u32_e32 vcc, s3, v7
	global_store_dwordx2 v[20:21], v[8:9], off
	global_store_dwordx2 v[22:23], v[26:27], off
	s_and_b64 exec, exec, vcc
	s_cbranch_execz .LBB0_44
; %bb.48:
	v_subrev_u32_e32 v4, 45, v32
	v_cndmask_b32_e64 v4, v4, v33, s[0:1]
	v_lshlrev_b32_e32 v4, 1, v4
	v_lshl_add_u64 v[4:5], v[4:5], 3, s[8:9]
	global_load_dwordx4 v[14:17], v[4:5], off offset:3560
	v_mad_u64_u32 v[4:5], s[0:1], s16, v7, 0
	v_add_u32_e32 v11, 0x357, v32
	v_add_u32_e32 v23, 0x519, v32
	v_mov_b32_e32 v8, v5
	v_mad_u64_u32 v[18:19], s[0:1], s16, v11, 0
	v_mad_u64_u32 v[20:21], s[0:1], s16, v23, 0
	;; [unrolled: 1-line block ×3, first 2 shown]
	v_mov_b32_e32 v22, v19
	v_mov_b32_e32 v24, v21
	;; [unrolled: 1-line block ×3, first 2 shown]
	v_mad_u64_u32 v[8:9], s[0:1], s17, v11, v[22:23]
	v_mad_u64_u32 v[22:23], s[0:1], s17, v23, v[24:25]
	v_mov_b32_e32 v19, v8
	v_mov_b32_e32 v21, v22
	v_lshl_add_u64 v[8:9], v[18:19], 3, v[2:3]
	v_lshl_add_u64 v[4:5], v[4:5], 3, v[2:3]
	;; [unrolled: 1-line block ×3, first 2 shown]
	s_waitcnt vmcnt(0)
	v_pk_mul_f32 v[10:11], v[10:11], v[14:15] op_sel_hi:[0,1]
	v_pk_mul_f32 v[18:19], v[12:13], v[16:17] op_sel_hi:[0,1]
	v_mov_b32_e32 v12, v1
	v_pk_fma_f32 v[20:21], v[0:1], v[14:15], v[10:11] op_sel:[0,0,1] op_sel_hi:[1,1,0] neg_lo:[0,0,1] neg_hi:[0,0,1]
	v_pk_fma_f32 v[0:1], v[0:1], v[14:15], v[10:11] op_sel:[0,0,1] op_sel_hi:[0,1,0]
	v_pk_fma_f32 v[10:11], v[6:7], v[16:17], v[18:19] op_sel:[0,0,1] op_sel_hi:[1,1,0] neg_lo:[0,0,1] neg_hi:[0,0,1]
	v_pk_fma_f32 v[6:7], v[6:7], v[16:17], v[18:19] op_sel:[0,0,1] op_sel_hi:[0,1,0]
	v_mov_b32_e32 v21, v1
	v_mov_b32_e32 v11, v7
	v_pk_add_f32 v[0:1], v[20:21], v[10:11]
	v_pk_add_f32 v[6:7], v[20:21], v[10:11] neg_lo:[0,1] neg_hi:[0,1]
	v_pk_add_f32 v[14:15], v[12:13], v[20:21]
	v_pk_fma_f32 v[0:1], -0.5, v[0:1], v[12:13] op_sel_hi:[0,1,1]
	v_pk_mul_f32 v[6:7], v[6:7], s[2:3] op_sel_hi:[1,0]
	v_pk_add_f32 v[10:11], v[14:15], v[10:11]
	v_pk_add_f32 v[12:13], v[0:1], v[6:7] op_sel:[0,1] op_sel_hi:[1,0]
	v_pk_add_f32 v[0:1], v[0:1], v[6:7] op_sel:[0,1] op_sel_hi:[1,0] neg_lo:[0,1] neg_hi:[0,1]
	global_store_dwordx2 v[4:5], v[10:11], off
	v_mov_b32_e32 v4, v12
	v_mov_b32_e32 v5, v1
	;; [unrolled: 1-line block ×3, first 2 shown]
	global_store_dwordx2 v[8:9], v[4:5], off
	global_store_dwordx2 v[2:3], v[0:1], off
	s_endpgm
	.section	.rodata,"a",@progbits
	.p2align	6, 0x0
	.amdhsa_kernel fft_rtc_fwd_len1350_factors_5_10_3_3_3_wgs_135_tpt_135_halfLds_sp_op_CI_CI_sbrr_dirReg
		.amdhsa_group_segment_fixed_size 0
		.amdhsa_private_segment_fixed_size 0
		.amdhsa_kernarg_size 104
		.amdhsa_user_sgpr_count 2
		.amdhsa_user_sgpr_dispatch_ptr 0
		.amdhsa_user_sgpr_queue_ptr 0
		.amdhsa_user_sgpr_kernarg_segment_ptr 1
		.amdhsa_user_sgpr_dispatch_id 0
		.amdhsa_user_sgpr_kernarg_preload_length 0
		.amdhsa_user_sgpr_kernarg_preload_offset 0
		.amdhsa_user_sgpr_private_segment_size 0
		.amdhsa_uses_dynamic_stack 0
		.amdhsa_enable_private_segment 0
		.amdhsa_system_sgpr_workgroup_id_x 1
		.amdhsa_system_sgpr_workgroup_id_y 0
		.amdhsa_system_sgpr_workgroup_id_z 0
		.amdhsa_system_sgpr_workgroup_info 0
		.amdhsa_system_vgpr_workitem_id 0
		.amdhsa_next_free_vgpr 74
		.amdhsa_next_free_sgpr 32
		.amdhsa_accum_offset 76
		.amdhsa_reserve_vcc 1
		.amdhsa_float_round_mode_32 0
		.amdhsa_float_round_mode_16_64 0
		.amdhsa_float_denorm_mode_32 3
		.amdhsa_float_denorm_mode_16_64 3
		.amdhsa_dx10_clamp 1
		.amdhsa_ieee_mode 1
		.amdhsa_fp16_overflow 0
		.amdhsa_tg_split 0
		.amdhsa_exception_fp_ieee_invalid_op 0
		.amdhsa_exception_fp_denorm_src 0
		.amdhsa_exception_fp_ieee_div_zero 0
		.amdhsa_exception_fp_ieee_overflow 0
		.amdhsa_exception_fp_ieee_underflow 0
		.amdhsa_exception_fp_ieee_inexact 0
		.amdhsa_exception_int_div_zero 0
	.end_amdhsa_kernel
	.text
.Lfunc_end0:
	.size	fft_rtc_fwd_len1350_factors_5_10_3_3_3_wgs_135_tpt_135_halfLds_sp_op_CI_CI_sbrr_dirReg, .Lfunc_end0-fft_rtc_fwd_len1350_factors_5_10_3_3_3_wgs_135_tpt_135_halfLds_sp_op_CI_CI_sbrr_dirReg
                                        ; -- End function
	.section	.AMDGPU.csdata,"",@progbits
; Kernel info:
; codeLenInByte = 8700
; NumSgprs: 38
; NumVgprs: 74
; NumAgprs: 0
; TotalNumVgprs: 74
; ScratchSize: 0
; MemoryBound: 0
; FloatMode: 240
; IeeeMode: 1
; LDSByteSize: 0 bytes/workgroup (compile time only)
; SGPRBlocks: 4
; VGPRBlocks: 9
; NumSGPRsForWavesPerEU: 38
; NumVGPRsForWavesPerEU: 74
; AccumOffset: 76
; Occupancy: 6
; WaveLimiterHint : 1
; COMPUTE_PGM_RSRC2:SCRATCH_EN: 0
; COMPUTE_PGM_RSRC2:USER_SGPR: 2
; COMPUTE_PGM_RSRC2:TRAP_HANDLER: 0
; COMPUTE_PGM_RSRC2:TGID_X_EN: 1
; COMPUTE_PGM_RSRC2:TGID_Y_EN: 0
; COMPUTE_PGM_RSRC2:TGID_Z_EN: 0
; COMPUTE_PGM_RSRC2:TIDIG_COMP_CNT: 0
; COMPUTE_PGM_RSRC3_GFX90A:ACCUM_OFFSET: 18
; COMPUTE_PGM_RSRC3_GFX90A:TG_SPLIT: 0
	.text
	.p2alignl 6, 3212836864
	.fill 256, 4, 3212836864
	.type	__hip_cuid_bba4cccf676cbb26,@object ; @__hip_cuid_bba4cccf676cbb26
	.section	.bss,"aw",@nobits
	.globl	__hip_cuid_bba4cccf676cbb26
__hip_cuid_bba4cccf676cbb26:
	.byte	0                               ; 0x0
	.size	__hip_cuid_bba4cccf676cbb26, 1

	.ident	"AMD clang version 19.0.0git (https://github.com/RadeonOpenCompute/llvm-project roc-6.4.0 25133 c7fe45cf4b819c5991fe208aaa96edf142730f1d)"
	.section	".note.GNU-stack","",@progbits
	.addrsig
	.addrsig_sym __hip_cuid_bba4cccf676cbb26
	.amdgpu_metadata
---
amdhsa.kernels:
  - .agpr_count:     0
    .args:
      - .actual_access:  read_only
        .address_space:  global
        .offset:         0
        .size:           8
        .value_kind:     global_buffer
      - .offset:         8
        .size:           8
        .value_kind:     by_value
      - .actual_access:  read_only
        .address_space:  global
        .offset:         16
        .size:           8
        .value_kind:     global_buffer
      - .actual_access:  read_only
        .address_space:  global
        .offset:         24
        .size:           8
        .value_kind:     global_buffer
      - .actual_access:  read_only
        .address_space:  global
        .offset:         32
        .size:           8
        .value_kind:     global_buffer
      - .offset:         40
        .size:           8
        .value_kind:     by_value
      - .actual_access:  read_only
        .address_space:  global
        .offset:         48
        .size:           8
        .value_kind:     global_buffer
      - .actual_access:  read_only
        .address_space:  global
        .offset:         56
        .size:           8
        .value_kind:     global_buffer
      - .offset:         64
        .size:           4
        .value_kind:     by_value
      - .actual_access:  read_only
        .address_space:  global
        .offset:         72
        .size:           8
        .value_kind:     global_buffer
      - .actual_access:  read_only
        .address_space:  global
        .offset:         80
        .size:           8
        .value_kind:     global_buffer
      - .actual_access:  read_only
        .address_space:  global
        .offset:         88
        .size:           8
        .value_kind:     global_buffer
      - .actual_access:  write_only
        .address_space:  global
        .offset:         96
        .size:           8
        .value_kind:     global_buffer
    .group_segment_fixed_size: 0
    .kernarg_segment_align: 8
    .kernarg_segment_size: 104
    .language:       OpenCL C
    .language_version:
      - 2
      - 0
    .max_flat_workgroup_size: 135
    .name:           fft_rtc_fwd_len1350_factors_5_10_3_3_3_wgs_135_tpt_135_halfLds_sp_op_CI_CI_sbrr_dirReg
    .private_segment_fixed_size: 0
    .sgpr_count:     38
    .sgpr_spill_count: 0
    .symbol:         fft_rtc_fwd_len1350_factors_5_10_3_3_3_wgs_135_tpt_135_halfLds_sp_op_CI_CI_sbrr_dirReg.kd
    .uniform_work_group_size: 1
    .uses_dynamic_stack: false
    .vgpr_count:     74
    .vgpr_spill_count: 0
    .wavefront_size: 64
amdhsa.target:   amdgcn-amd-amdhsa--gfx950
amdhsa.version:
  - 1
  - 2
...

	.end_amdgpu_metadata
